;; amdgpu-corpus repo=zjin-lcf/HeCBench kind=compiled arch=gfx1250 opt=O3
	.amdgcn_target "amdgcn-amd-amdhsa--gfx1250"
	.amdhsa_code_object_version 6
	.text
	.protected	_Z13DCT8x8_kernelPfPKfjjj ; -- Begin function _Z13DCT8x8_kernelPfPKfjjj
	.globl	_Z13DCT8x8_kernelPfPKfjjj
	.p2align	8
	.type	_Z13DCT8x8_kernelPfPKfjjj,@function
_Z13DCT8x8_kernelPfPKfjjj:              ; @_Z13DCT8x8_kernelPfPKfjjj
; %bb.0:
	s_bfe_u32 s3, ttmp6, 0x4000c
	s_bfe_u32 s7, ttmp6, 0x40010
	s_add_co_i32 s3, s3, 1
	v_bfe_u32 v4, v0, 10, 10
	s_load_b96 s[4:6], s[0:1], 0x10
	s_and_b32 s2, ttmp6, 15
	s_mul_i32 s3, ttmp9, s3
	s_add_co_i32 s7, s7, 1
	s_add_co_i32 s2, s2, s3
	s_mul_i32 s3, ttmp7, s7
	s_bfe_u32 s7, ttmp6, 0x40004
	s_getreg_b32 s8, hwreg(HW_REG_IB_STS2, 6, 4)
	v_and_b32_e32 v5, 0x3ff, v0
	v_lshlrev_b32_e32 v6, 3, v4
	s_add_co_i32 s7, s7, s3
	s_cmp_eq_u32 s8, 0
	v_and_b32_e32 v7, 7, v0
	s_cselect_b32 s2, ttmp9, s2
	s_cselect_b32 s3, ttmp7, s7
	v_lshl_add_u32 v0, s2, 5, v5
	v_lshl_add_u32 v1, s3, 4, v6
	s_mov_b32 s19, 0
	s_delay_alu instid0(VALU_DEP_2) | instskip(NEXT) | instid1(VALU_DEP_2)
	v_xad_u32 v2, v7, 7, v0
	v_or_b32_e32 v3, 7, v1
	s_wait_kmcnt 0x0
	s_delay_alu instid0(VALU_DEP_2) | instskip(NEXT) | instid1(VALU_DEP_2)
	v_cmp_gt_u32_e32 vcc_lo, s6, v2
	v_cmp_gt_u32_e64 s2, s5, v3
	s_and_b32 s2, vcc_lo, s2
	s_delay_alu instid0(SALU_CYCLE_1)
	s_and_saveexec_b32 s3, s2
	s_cbranch_execz .LBB0_2
; %bb.1:
	s_load_b128 s[0:3], s[0:1], 0x0
	v_mad_u32 v0, s4, v1, v0
	v_dual_mov_b32 v1, 0 :: v_dual_bitop2_b32 v6, v6, v7 bitop3:0x54
	s_lshl_b32 s18, s4, 1
	s_mov_b32 s5, s19
	s_lshl_b64 s[6:7], s[18:19], 2
	s_mul_i32 s18, s4, 3
	s_lshl_b64 s[16:17], s[4:5], 2
	s_lshl_b64 s[8:9], s[18:19], 2
	s_lshl_b32 s18, s4, 2
	v_lshlrev_b32_e32 v7, 2, v5
	s_delay_alu instid0(VALU_DEP_3)
	v_lshlrev_b64_e32 v[2:3], 2, v[0:1]
	s_lshl_b64 s[10:11], s[18:19], 2
	s_mul_i32 s18, s4, 5
	v_and_b32_e32 v5, 0x3f8, v5
	s_lshl_b64 s[12:13], s[18:19], 2
	s_mul_i32 s18, s4, 6
	v_mul_u32_u24_e32 v6, 0x84, v6
	s_lshl_b64 s[14:15], s[18:19], 2
	s_wait_kmcnt 0x0
	v_add_nc_u64_e32 v[8:9], s[2:3], v[2:3]
	s_mul_i32 s18, s4, 7
	v_mad_u32_u24 v38, 0x420, v4, v7
	s_lshl_b64 s[4:5], s[18:19], 2
	v_lshl_add_u32 v39, v5, 2, v6
	v_add_nc_u64_e32 v[2:3], s[0:1], v[2:3]
	s_delay_alu instid0(VALU_DEP_4)
	v_add_nc_u64_e32 v[10:11], s[16:17], v[8:9]
	v_add_nc_u64_e32 v[12:13], s[6:7], v[8:9]
	v_add_nc_u64_e32 v[14:15], s[8:9], v[8:9]
	v_add_nc_u64_e32 v[16:17], s[10:11], v[8:9]
	v_add_nc_u64_e32 v[18:19], s[12:13], v[8:9]
	v_add_nc_u64_e32 v[20:21], s[14:15], v[8:9]
	v_add_nc_u64_e32 v[8:9], s[4:5], v[8:9]
	s_clause 0x7
	global_load_b32 v1, v0, s[2:3] scale_offset
	global_load_b32 v22, v[10:11], off
	global_load_b32 v23, v[12:13], off
	;; [unrolled: 1-line block ×7, first 2 shown]
	s_wait_xcnt 0x4
	v_mov_b64_e32 v[14:15], 0xbf968317bfb18a86
	s_wait_xcnt 0x3
	v_mov_b64_e32 v[16:17], 0x3fb18a863f968317
	;; [unrolled: 2-line block ×4, first 2 shown]
	s_mov_b32 s2, 0x3eb504f3
	s_wait_loadcnt 0x6
	ds_store_2addr_b32 v38, v1, v22 offset1:33
	s_wait_loadcnt 0x4
	ds_store_2addr_b32 v38, v23, v24 offset0:66 offset1:99
	s_wait_loadcnt 0x2
	ds_store_2addr_b32 v38, v25, v26 offset0:132 offset1:165
	;; [unrolled: 2-line block ×3, first 2 shown]
	ds_load_2addr_b32 v[4:5], v39 offset0:2 offset1:5
	ds_load_2addr_b32 v[6:7], v39 offset0:6 offset1:7
	ds_load_2addr_b32 v[8:9], v39 offset1:1
	ds_load_2addr_b32 v[10:11], v39 offset0:3 offset1:4
	ds_load_2addr_b32 v[12:13], v39 offset0:1 offset1:2
	v_mov_b32_e32 v23, 0x3e8d42af
	v_mov_b64_e32 v[26:27], 0x3fb18a863f0a8bd4
	v_mov_b64_e32 v[24:25], 0x3f49234e3f0a8bd4
	s_wait_dscnt 0x3
	v_dual_sub_f32 v29, v4, v5 :: v_dual_mov_b32 v22, v7
	s_wait_dscnt 0x2
	v_dual_mov_b32 v4, v6 :: v_dual_mov_b32 v30, v8
	v_mov_b32_e32 v31, v6
	s_wait_dscnt 0x1
	v_pk_add_f32 v[32:33], v[10:11], v[10:11] op_sel:[0,1] op_sel_hi:[1,0]
	v_pk_add_f32 v[10:11], v[10:11], v[10:11] op_sel:[0,1] op_sel_hi:[1,0] neg_lo:[0,1] neg_hi:[0,1]
	v_pk_add_f32 v[34:35], v[8:9], v[22:23]
	v_mov_b32_e32 v8, v7
	s_wait_dscnt 0x0
	v_pk_add_f32 v[4:5], v[12:13], v[4:5]
	v_dual_mov_b32 v6, v32 :: v_dual_mov_b32 v7, v11
	v_mov_b32_e32 v22, v34
	v_pk_add_f32 v[8:9], v[30:31], v[8:9] neg_lo:[0,1] neg_hi:[0,1]
	v_pk_add_f32 v[32:33], v[32:33], v[34:35]
	v_dual_mul_f32 v13, 0x3f49234e, v29 :: v_dual_mov_b32 v36, v29
	v_pk_add_f32 v[6:7], v[34:35], v[6:7] neg_lo:[0,1] neg_hi:[0,1]
	s_delay_alu instid0(VALU_DEP_4) | instskip(SKIP_2) | instid1(VALU_DEP_3)
	v_dual_mul_f32 v34, 0x3fb18a86, v8 :: v_dual_mov_b32 v37, v8
	v_dual_mov_b32 v28, v8 :: v_dual_mov_b32 v30, v5
	v_mov_b32_e32 v12, v4
	v_pk_fma_f32 v[14:15], v[8:9], v[14:15], v[34:35] op_sel_hi:[1,1,0]
	s_delay_alu instid0(VALU_DEP_4)
	v_pk_mul_f32 v[18:19], v[36:37], v[18:19]
	v_pk_mul_f32 v[20:21], v[36:37], v[20:21]
	v_mov_b32_e32 v14, v5
	v_pk_mul_f32 v[16:17], v[28:29], v[16:17]
	v_pk_add_f32 v[30:31], v[4:5], v[30:31] neg_lo:[0,1] neg_hi:[0,1]
	v_dual_mov_b32 v7, v11 :: v_dual_mul_f32 v4, 0x3fa73d75, v6
	v_mov_b32_e32 v31, v11
	s_delay_alu instid0(VALU_DEP_4) | instskip(SKIP_3) | instid1(VALU_DEP_4)
	v_fmamk_f32 v1, v9, 0x3e8d42af, v16
	v_fmamk_f32 v16, v9, 0x3fb18a86, v19
	v_fmamk_f32 v19, v9, 0x3f49234e, v21
	v_pk_add_f32 v[8:9], v[12:13], v[14:15]
	v_dual_mul_f32 v12, 0x3fa73d75, v30 :: v_dual_sub_f32 v5, v1, v17
	s_delay_alu instid0(VALU_DEP_3) | instskip(NEXT) | instid1(VALU_DEP_3)
	v_dual_add_f32 v13, v20, v19 :: v_dual_add_f32 v1, v18, v16
	v_pk_fma_f32 v[16:17], v[10:11], v[22:23], v[8:9] neg_lo:[1,0,0] neg_hi:[1,0,0]
	v_pk_add_f32 v[14:15], v[8:9], v[32:33]
	v_mul_f32_e32 v9, 0x3f968317, v11
	s_delay_alu instid0(VALU_DEP_4) | instskip(SKIP_3) | instid1(VALU_DEP_4)
	v_pk_fma_f32 v[10:11], v[10:11], v[26:27], v[12:13]
	v_pk_fma_f32 v[4:5], v[30:31], v[24:25], v[4:5]
	v_dual_mov_b32 v15, v17 :: v_dual_mov_b32 v33, v1
	v_pk_fma_f32 v[6:7], v[6:7], v[26:27], v[12:13] neg_lo:[0,0,1] neg_hi:[0,0,1]
	v_mov_b32_e32 v7, v11
	s_delay_alu instid0(VALU_DEP_4) | instskip(NEXT) | instid1(VALU_DEP_4)
	v_pk_mul_f32 v[4:5], v[4:5], s[2:3] op_sel_hi:[1,0]
	v_pk_mul_f32 v[10:11], v[14:15], s[2:3] op_sel_hi:[1,0]
	v_pk_add_f32 v[8:9], v[32:33], v[8:9] neg_lo:[0,1] neg_hi:[0,1]
	v_add_nc_u64_e32 v[12:13], s[16:17], v[2:3]
	v_pk_mul_f32 v[6:7], v[6:7], s[2:3] op_sel_hi:[1,0]
	v_add_nc_u64_e32 v[14:15], s[6:7], v[2:3]
	v_add_nc_u64_e32 v[16:17], s[8:9], v[2:3]
	v_pk_mul_f32 v[8:9], v[8:9], s[2:3] op_sel_hi:[1,0]
	ds_store_2addr_b32 v39, v10, v11 offset1:1
	ds_store_2addr_b32 v39, v4, v5 offset0:2 offset1:3
	ds_store_2addr_b32 v39, v8, v9 offset0:4 offset1:5
	;; [unrolled: 1-line block ×3, first 2 shown]
	ds_load_2addr_b32 v[4:5], v38 offset1:33
	ds_load_2addr_b32 v[6:7], v38 offset0:198 offset1:231
	ds_load_2addr_b32 v[8:9], v38 offset0:66 offset1:99
	;; [unrolled: 1-line block ×3, first 2 shown]
	v_add_nc_u64_e32 v[18:19], s[10:11], v[2:3]
	v_add_nc_u64_e32 v[20:21], s[12:13], v[2:3]
	;; [unrolled: 1-line block ×4, first 2 shown]
	s_wait_dscnt 0x2
	v_dual_add_f32 v1, v4, v7 :: v_dual_add_f32 v24, v5, v6
	s_wait_dscnt 0x0
	v_dual_sub_f32 v5, v6, v5 :: v_dual_add_f32 v25, v8, v11
	v_dual_sub_f32 v6, v8, v11 :: v_dual_add_f32 v26, v9, v10
	s_delay_alu instid0(VALU_DEP_2) | instskip(SKIP_1) | instid1(VALU_DEP_3)
	v_dual_sub_f32 v4, v4, v7 :: v_dual_mul_f32 v11, 0xbf968317, v5
	v_sub_f32_e32 v7, v10, v9
	v_dual_add_f32 v9, v24, v25 :: v_dual_add_f32 v8, v1, v26
	v_dual_sub_f32 v1, v1, v26 :: v_dual_sub_f32 v10, v24, v25
	v_mul_f32_e32 v24, 0x3e8d42af, v5
	v_mul_f32_e32 v25, 0x3fb18a86, v5
	;; [unrolled: 1-line block ×3, first 2 shown]
	v_fmac_f32_e32 v11, 0x3fb18a86, v4
	v_dual_add_f32 v26, v9, v8 :: v_dual_sub_f32 v8, v8, v9
	v_mul_f32_e32 v9, 0x3fa73d75, v10
	s_delay_alu instid0(VALU_DEP_4)
	v_fmac_f32_e32 v5, 0x3e8d42af, v4
	v_fmac_f32_e32 v24, 0x3f968317, v4
	;; [unrolled: 1-line block ×3, first 2 shown]
	v_mul_f32_e32 v27, 0x3fa73d75, v1
	v_fmac_f32_e32 v11, 0x3f49234e, v6
	v_fma_f32 v1, 0x3f0a8bd4, v1, -v9
	v_fmac_f32_e32 v5, 0x3f968317, v6
	v_fmamk_f32 v9, v6, 0xbfb18a86, v24
	v_fmac_f32_e32 v25, 0x3e8d42af, v6
	v_fmac_f32_e32 v27, 0x3f0a8bd4, v10
	v_fmamk_f32 v10, v7, 0xbe8d42af, v11
	v_dual_mul_f32 v4, 0x3eb504f3, v26 :: v_dual_mul_f32 v1, 0x3eb504f3, v1
	v_fmac_f32_e32 v9, 0x3f49234e, v7
	v_fmac_f32_e32 v25, 0xbf968317, v7
	v_mul_f32_e32 v8, 0x3eb504f3, v8
	v_fmac_f32_e32 v5, 0x3fb18a86, v7
	v_dual_mul_f32 v7, 0x3eb504f3, v10 :: v_dual_mul_f32 v6, 0x3eb504f3, v27
	global_store_b32 v0, v4, s[0:1] scale_offset
	s_wait_xcnt 0x0
	v_mul_f32_e32 v0, 0x3eb504f3, v9
	v_mul_f32_e32 v4, 0x3eb504f3, v25
	;; [unrolled: 1-line block ×3, first 2 shown]
	s_clause 0x6
	global_store_b32 v[12:13], v7, off
	global_store_b32 v[14:15], v6, off
	;; [unrolled: 1-line block ×7, first 2 shown]
.LBB0_2:
	s_endpgm
	.section	.rodata,"a",@progbits
	.p2align	6, 0x0
	.amdhsa_kernel _Z13DCT8x8_kernelPfPKfjjj
		.amdhsa_group_segment_fixed_size 2112
		.amdhsa_private_segment_fixed_size 0
		.amdhsa_kernarg_size 28
		.amdhsa_user_sgpr_count 2
		.amdhsa_user_sgpr_dispatch_ptr 0
		.amdhsa_user_sgpr_queue_ptr 0
		.amdhsa_user_sgpr_kernarg_segment_ptr 1
		.amdhsa_user_sgpr_dispatch_id 0
		.amdhsa_user_sgpr_kernarg_preload_length 0
		.amdhsa_user_sgpr_kernarg_preload_offset 0
		.amdhsa_user_sgpr_private_segment_size 0
		.amdhsa_wavefront_size32 1
		.amdhsa_uses_dynamic_stack 0
		.amdhsa_enable_private_segment 0
		.amdhsa_system_sgpr_workgroup_id_x 1
		.amdhsa_system_sgpr_workgroup_id_y 1
		.amdhsa_system_sgpr_workgroup_id_z 0
		.amdhsa_system_sgpr_workgroup_info 0
		.amdhsa_system_vgpr_workitem_id 1
		.amdhsa_next_free_vgpr 40
		.amdhsa_next_free_sgpr 20
		.amdhsa_named_barrier_count 0
		.amdhsa_reserve_vcc 1
		.amdhsa_float_round_mode_32 0
		.amdhsa_float_round_mode_16_64 0
		.amdhsa_float_denorm_mode_32 3
		.amdhsa_float_denorm_mode_16_64 3
		.amdhsa_fp16_overflow 0
		.amdhsa_memory_ordered 1
		.amdhsa_forward_progress 1
		.amdhsa_inst_pref_size 13
		.amdhsa_round_robin_scheduling 0
		.amdhsa_exception_fp_ieee_invalid_op 0
		.amdhsa_exception_fp_denorm_src 0
		.amdhsa_exception_fp_ieee_div_zero 0
		.amdhsa_exception_fp_ieee_overflow 0
		.amdhsa_exception_fp_ieee_underflow 0
		.amdhsa_exception_fp_ieee_inexact 0
		.amdhsa_exception_int_div_zero 0
	.end_amdhsa_kernel
	.text
.Lfunc_end0:
	.size	_Z13DCT8x8_kernelPfPKfjjj, .Lfunc_end0-_Z13DCT8x8_kernelPfPKfjjj
                                        ; -- End function
	.set _Z13DCT8x8_kernelPfPKfjjj.num_vgpr, 40
	.set _Z13DCT8x8_kernelPfPKfjjj.num_agpr, 0
	.set _Z13DCT8x8_kernelPfPKfjjj.numbered_sgpr, 20
	.set _Z13DCT8x8_kernelPfPKfjjj.num_named_barrier, 0
	.set _Z13DCT8x8_kernelPfPKfjjj.private_seg_size, 0
	.set _Z13DCT8x8_kernelPfPKfjjj.uses_vcc, 1
	.set _Z13DCT8x8_kernelPfPKfjjj.uses_flat_scratch, 0
	.set _Z13DCT8x8_kernelPfPKfjjj.has_dyn_sized_stack, 0
	.set _Z13DCT8x8_kernelPfPKfjjj.has_recursion, 0
	.set _Z13DCT8x8_kernelPfPKfjjj.has_indirect_call, 0
	.section	.AMDGPU.csdata,"",@progbits
; Kernel info:
; codeLenInByte = 1540
; TotalNumSgprs: 22
; NumVgprs: 40
; ScratchSize: 0
; MemoryBound: 0
; FloatMode: 240
; IeeeMode: 1
; LDSByteSize: 2112 bytes/workgroup (compile time only)
; SGPRBlocks: 0
; VGPRBlocks: 2
; NumSGPRsForWavesPerEU: 22
; NumVGPRsForWavesPerEU: 40
; NamedBarCnt: 0
; Occupancy: 16
; WaveLimiterHint : 0
; COMPUTE_PGM_RSRC2:SCRATCH_EN: 0
; COMPUTE_PGM_RSRC2:USER_SGPR: 2
; COMPUTE_PGM_RSRC2:TRAP_HANDLER: 0
; COMPUTE_PGM_RSRC2:TGID_X_EN: 1
; COMPUTE_PGM_RSRC2:TGID_Y_EN: 1
; COMPUTE_PGM_RSRC2:TGID_Z_EN: 0
; COMPUTE_PGM_RSRC2:TIDIG_COMP_CNT: 1
	.text
	.protected	_Z14IDCT8x8_kernelPfPKfjjj ; -- Begin function _Z14IDCT8x8_kernelPfPKfjjj
	.globl	_Z14IDCT8x8_kernelPfPKfjjj
	.p2align	8
	.type	_Z14IDCT8x8_kernelPfPKfjjj,@function
_Z14IDCT8x8_kernelPfPKfjjj:             ; @_Z14IDCT8x8_kernelPfPKfjjj
; %bb.0:
	s_bfe_u32 s3, ttmp6, 0x4000c
	s_bfe_u32 s7, ttmp6, 0x40010
	s_add_co_i32 s3, s3, 1
	v_bfe_u32 v4, v0, 10, 10
	s_load_b96 s[4:6], s[0:1], 0x10
	s_and_b32 s2, ttmp6, 15
	s_mul_i32 s3, ttmp9, s3
	s_add_co_i32 s7, s7, 1
	s_add_co_i32 s2, s2, s3
	s_mul_i32 s3, ttmp7, s7
	s_bfe_u32 s7, ttmp6, 0x40004
	s_getreg_b32 s8, hwreg(HW_REG_IB_STS2, 6, 4)
	v_and_b32_e32 v5, 0x3ff, v0
	v_lshlrev_b32_e32 v6, 3, v4
	s_add_co_i32 s7, s7, s3
	s_cmp_eq_u32 s8, 0
	v_and_b32_e32 v7, 7, v0
	s_cselect_b32 s2, ttmp9, s2
	s_cselect_b32 s3, ttmp7, s7
	v_lshl_add_u32 v0, s2, 5, v5
	v_lshl_add_u32 v1, s3, 4, v6
	s_mov_b32 s19, 0
	s_delay_alu instid0(VALU_DEP_2) | instskip(NEXT) | instid1(VALU_DEP_2)
	v_xad_u32 v2, v7, 7, v0
	v_or_b32_e32 v3, 7, v1
	s_wait_kmcnt 0x0
	s_delay_alu instid0(VALU_DEP_2) | instskip(NEXT) | instid1(VALU_DEP_2)
	v_cmp_gt_u32_e32 vcc_lo, s6, v2
	v_cmp_gt_u32_e64 s2, s5, v3
	s_and_b32 s2, vcc_lo, s2
	s_delay_alu instid0(SALU_CYCLE_1)
	s_and_saveexec_b32 s3, s2
	s_cbranch_execz .LBB1_2
; %bb.1:
	s_load_b128 s[0:3], s[0:1], 0x0
	v_mad_u32 v0, s4, v1, v0
	v_dual_mov_b32 v1, 0 :: v_dual_bitop2_b32 v6, v6, v7 bitop3:0x54
	s_lshl_b32 s18, s4, 1
	s_mov_b32 s5, s19
	s_lshl_b64 s[6:7], s[18:19], 2
	s_mul_i32 s18, s4, 3
	s_lshl_b64 s[16:17], s[4:5], 2
	s_lshl_b64 s[8:9], s[18:19], 2
	s_lshl_b32 s18, s4, 2
	v_lshlrev_b32_e32 v7, 2, v5
	s_delay_alu instid0(VALU_DEP_3)
	v_lshlrev_b64_e32 v[2:3], 2, v[0:1]
	s_lshl_b64 s[10:11], s[18:19], 2
	s_mul_i32 s18, s4, 5
	v_and_b32_e32 v5, 0x3f8, v5
	s_lshl_b64 s[12:13], s[18:19], 2
	s_mul_i32 s18, s4, 6
	v_mul_u32_u24_e32 v6, 0x84, v6
	s_lshl_b64 s[14:15], s[18:19], 2
	s_wait_kmcnt 0x0
	v_add_nc_u64_e32 v[8:9], s[2:3], v[2:3]
	s_mul_i32 s18, s4, 7
	v_mad_u32_u24 v33, 0x420, v4, v7
	s_lshl_b64 s[4:5], s[18:19], 2
	v_lshl_add_u32 v36, v5, 2, v6
	v_add_nc_u64_e32 v[2:3], s[0:1], v[2:3]
	s_delay_alu instid0(VALU_DEP_4)
	v_add_nc_u64_e32 v[10:11], s[16:17], v[8:9]
	v_add_nc_u64_e32 v[12:13], s[6:7], v[8:9]
	;; [unrolled: 1-line block ×7, first 2 shown]
	s_clause 0x7
	global_load_b32 v1, v0, s[2:3] scale_offset
	global_load_b32 v22, v[10:11], off
	global_load_b32 v23, v[12:13], off
	;; [unrolled: 1-line block ×7, first 2 shown]
	s_wait_xcnt 0x5
	v_mov_b64_e32 v[12:13], 0x3fa73d753f0a8bd4
	s_wait_xcnt 0x4
	v_mov_b64_e32 v[14:15], 0x3f0a8bd43fa73d75
	;; [unrolled: 2-line block ×5, first 2 shown]
	s_mov_b32 s2, 0x3eb504f3
	s_wait_loadcnt 0x6
	ds_store_2addr_b32 v33, v1, v22 offset1:33
	s_wait_loadcnt 0x4
	ds_store_2addr_b32 v33, v23, v24 offset0:66 offset1:99
	s_wait_loadcnt 0x2
	ds_store_2addr_b32 v33, v25, v26 offset0:132 offset1:165
	;; [unrolled: 2-line block ×3, first 2 shown]
	ds_load_2addr_b32 v[4:5], v36 offset1:1
	ds_load_2addr_b32 v[6:7], v36 offset0:4 offset1:5
	ds_load_2addr_b32 v[8:9], v36 offset0:6 offset1:7
	;; [unrolled: 1-line block ×3, first 2 shown]
	v_mov_b64_e32 v[24:25], 0x3e8d42af3f49234e
	v_mov_b64_e32 v[26:27], 0x3fb18a863f968317
	;; [unrolled: 1-line block ×3, first 2 shown]
	s_wait_dscnt 0x3
	s_delay_alu instid0(VALU_DEP_3)
	v_pk_mul_f32 v[24:25], v[4:5], v[24:25] op_sel:[1,0]
	s_wait_dscnt 0x2
	v_dual_sub_f32 v29, v4, v6 :: v_dual_mov_b32 v30, v5
	s_wait_dscnt 0x1
	v_pk_mul_f32 v[12:13], v[8:9], v[12:13] op_sel_hi:[0,1]
	v_dual_mov_b32 v31, v9 :: v_dual_mov_b32 v32, v9
	v_add_f32_e32 v28, v4, v6
	s_wait_dscnt 0x0
	s_delay_alu instid0(VALU_DEP_3)
	v_pk_fma_f32 v[34:35], v[10:11], v[14:15], v[12:13] op_sel_hi:[0,1,1] neg_lo:[0,0,1] neg_hi:[0,0,1]
	v_mov_b32_e32 v4, v9
	v_pk_mul_f32 v[30:31], v[30:31], v[16:17]
	v_pk_fma_f32 v[8:9], v[8:9], v[26:27], v[24:25] op_sel:[1,0,0] neg_lo:[0,0,1] neg_hi:[0,0,1]
	v_pk_fma_f32 v[12:13], v[10:11], v[14:15], v[12:13]
	v_pk_fma_f32 v[14:15], v[32:33], v[26:27], v[24:25]
	v_mov_b32_e32 v13, v35
	v_pk_fma_f32 v[4:5], v[4:5], v[18:19], v[30:31] neg_lo:[0,0,1] neg_hi:[0,0,1]
	v_mov_b32_e32 v15, v9
	v_pk_fma_f32 v[8:9], v[10:11], v[16:17], v[8:9] op_sel:[1,0,0]
	v_pk_fma_f32 v[24:25], v[32:33], v[18:19], v[30:31]
	s_delay_alu instid0(VALU_DEP_4)
	v_mov_b32_e32 v25, v5
	v_pk_fma_f32 v[4:5], v[10:11], v[20:21], v[4:5] op_sel:[1,0,0] neg_lo:[1,0,0] neg_hi:[1,0,0]
	v_pk_fma_f32 v[14:15], v[10:11], v[16:17], v[14:15] op_sel:[1,0,0] neg_lo:[1,0,0] neg_hi:[1,0,0]
	;; [unrolled: 1-line block ×3, first 2 shown]
	v_pk_add_f32 v[16:17], v[28:29], v[12:13] neg_lo:[0,1] neg_hi:[0,1]
	v_pk_fma_f32 v[10:11], v[10:11], v[20:21], v[24:25] op_sel:[1,0,0]
	v_pk_fma_f32 v[4:5], v[6:7], v[22:23], v[4:5] op_sel:[1,0,0] neg_lo:[1,0,0] neg_hi:[1,0,0]
	v_pk_fma_f32 v[14:15], v[6:7], v[18:19], v[14:15] op_sel:[1,0,0]
	v_mov_b32_e32 v15, v9
	v_pk_add_f32 v[8:9], v[28:29], v[12:13]
	v_pk_fma_f32 v[6:7], v[6:7], v[22:23], v[10:11] op_sel:[1,0,0]
	v_mov_b32_e32 v7, v5
	v_add_nc_u64_e32 v[18:19], s[10:11], v[2:3]
	v_pk_add_f32 v[4:5], v[16:17], v[14:15] op_sel:[1,0] op_sel_hi:[0,1]
	v_pk_add_f32 v[10:11], v[16:17], v[14:15] op_sel:[1,0] op_sel_hi:[0,1] neg_lo:[0,1] neg_hi:[0,1]
	v_add_nc_u64_e32 v[16:17], s[8:9], v[2:3]
	v_pk_add_f32 v[12:13], v[8:9], v[6:7]
	v_pk_add_f32 v[6:7], v[8:9], v[6:7] neg_lo:[0,1] neg_hi:[0,1]
	s_delay_alu instid0(VALU_DEP_4) | instskip(SKIP_1) | instid1(VALU_DEP_4)
	v_dual_mov_b32 v14, v4 :: v_dual_mov_b32 v15, v11
	v_dual_mov_b32 v4, v5 :: v_dual_mov_b32 v5, v10
	v_pk_mul_f32 v[8:9], v[12:13], s[2:3] op_sel_hi:[1,0]
	s_delay_alu instid0(VALU_DEP_4) | instskip(NEXT) | instid1(VALU_DEP_4)
	v_pk_mul_f32 v[6:7], v[6:7], s[2:3] op_sel_hi:[1,0]
	v_pk_mul_f32 v[10:11], v[14:15], s[2:3] op_sel_hi:[1,0]
	v_add_nc_u64_e32 v[12:13], s[16:17], v[2:3]
	v_pk_mul_f32 v[4:5], v[4:5], s[2:3] op_sel_hi:[1,0]
	ds_store_2addr_b32 v36, v8, v9 offset1:1
	ds_store_2addr_b32 v36, v10, v11 offset0:2 offset1:3
	ds_store_2addr_b32 v36, v4, v5 offset0:4 offset1:5
	;; [unrolled: 1-line block ×3, first 2 shown]
	ds_load_2addr_b32 v[4:5], v33 offset1:33
	ds_load_2addr_b32 v[6:7], v33 offset0:132 offset1:165
	ds_load_2addr_b32 v[8:9], v33 offset0:198 offset1:231
	;; [unrolled: 1-line block ×3, first 2 shown]
	v_add_nc_u64_e32 v[14:15], s[6:7], v[2:3]
	v_add_nc_u64_e32 v[20:21], s[12:13], v[2:3]
	;; [unrolled: 1-line block ×4, first 2 shown]
	s_wait_dscnt 0x3
	v_mul_f32_e32 v25, 0x3fb18a86, v5
	s_wait_dscnt 0x1
	v_dual_add_f32 v1, v4, v6 :: v_dual_mul_f32 v24, 0x3f0a8bd4, v8
	s_delay_alu instid0(VALU_DEP_2) | instskip(SKIP_1) | instid1(VALU_DEP_2)
	v_dual_sub_f32 v4, v4, v6 :: v_dual_fmac_f32 v25, 0x3e8d42af, v9
	s_wait_dscnt 0x0
	v_fmac_f32_e32 v24, 0x3fa73d75, v10
	v_mul_f32_e32 v26, 0xbe8d42af, v5
	v_mul_f32_e32 v27, 0x3f49234e, v5
	v_fmac_f32_e32 v25, 0x3f968317, v11
	s_delay_alu instid0(VALU_DEP_1) | instskip(SKIP_1) | instid1(VALU_DEP_1)
	v_fmac_f32_e32 v25, 0x3f49234e, v7
	v_mul_f32_e32 v6, 0x3fa73d75, v8
	v_fma_f32 v6, 0x3f0a8bd4, v10, -v6
	v_mul_f32_e32 v8, 0x3f49234e, v9
	s_delay_alu instid0(VALU_DEP_1) | instskip(SKIP_3) | instid1(VALU_DEP_4)
	v_fma_f32 v5, 0x3f968317, v5, -v8
	v_dual_add_f32 v8, v1, v24 :: v_dual_sub_f32 v1, v1, v24
	v_fmac_f32_e32 v26, 0x3fb18a86, v9
	v_fmac_f32_e32 v27, 0x3f968317, v9
	;; [unrolled: 1-line block ×3, first 2 shown]
	v_dual_add_f32 v9, v4, v6 :: v_dual_sub_f32 v4, v4, v6
	s_delay_alu instid0(VALU_DEP_2) | instskip(SKIP_1) | instid1(VALU_DEP_1)
	v_fmac_f32_e32 v5, 0xbfb18a86, v7
	v_fmac_f32_e32 v26, 0x3f49234e, v11
	v_fmamk_f32 v6, v7, 0xbf968317, v26
	s_delay_alu instid0(VALU_DEP_1) | instskip(SKIP_2) | instid1(VALU_DEP_3)
	v_dual_add_f32 v10, v1, v6 :: v_dual_fmac_f32 v27, 0xbfb18a86, v11
	v_sub_f32_e32 v1, v1, v6
	v_dual_add_f32 v6, v9, v5 :: v_dual_sub_f32 v5, v9, v5
	v_mul_f32_e32 v9, 0x3eb504f3, v10
	s_delay_alu instid0(VALU_DEP_4) | instskip(SKIP_1) | instid1(VALU_DEP_4)
	v_fmac_f32_e32 v27, 0x3e8d42af, v7
	v_dual_add_f32 v7, v8, v25 :: v_dual_sub_f32 v8, v8, v25
	v_dual_mul_f32 v1, 0x3eb504f3, v1 :: v_dual_mul_f32 v6, 0x3eb504f3, v6
	s_delay_alu instid0(VALU_DEP_3) | instskip(NEXT) | instid1(VALU_DEP_3)
	v_dual_sub_f32 v11, v4, v27 :: v_dual_add_f32 v4, v4, v27
	v_dual_mul_f32 v7, 0x3eb504f3, v7 :: v_dual_mul_f32 v8, 0x3eb504f3, v8
	s_delay_alu instid0(VALU_DEP_2) | instskip(NEXT) | instid1(VALU_DEP_3)
	v_dual_mul_f32 v5, 0x3eb504f3, v5 :: v_dual_mul_f32 v10, 0x3eb504f3, v11
	v_mul_f32_e32 v4, 0x3eb504f3, v4
	s_clause 0x7
	global_store_b32 v0, v7, s[0:1] scale_offset
	global_store_b32 v[12:13], v6, off
	global_store_b32 v[14:15], v4, off
	;; [unrolled: 1-line block ×7, first 2 shown]
.LBB1_2:
	s_endpgm
	.section	.rodata,"a",@progbits
	.p2align	6, 0x0
	.amdhsa_kernel _Z14IDCT8x8_kernelPfPKfjjj
		.amdhsa_group_segment_fixed_size 2112
		.amdhsa_private_segment_fixed_size 0
		.amdhsa_kernarg_size 28
		.amdhsa_user_sgpr_count 2
		.amdhsa_user_sgpr_dispatch_ptr 0
		.amdhsa_user_sgpr_queue_ptr 0
		.amdhsa_user_sgpr_kernarg_segment_ptr 1
		.amdhsa_user_sgpr_dispatch_id 0
		.amdhsa_user_sgpr_kernarg_preload_length 0
		.amdhsa_user_sgpr_kernarg_preload_offset 0
		.amdhsa_user_sgpr_private_segment_size 0
		.amdhsa_wavefront_size32 1
		.amdhsa_uses_dynamic_stack 0
		.amdhsa_enable_private_segment 0
		.amdhsa_system_sgpr_workgroup_id_x 1
		.amdhsa_system_sgpr_workgroup_id_y 1
		.amdhsa_system_sgpr_workgroup_id_z 0
		.amdhsa_system_sgpr_workgroup_info 0
		.amdhsa_system_vgpr_workitem_id 1
		.amdhsa_next_free_vgpr 37
		.amdhsa_next_free_sgpr 20
		.amdhsa_named_barrier_count 0
		.amdhsa_reserve_vcc 1
		.amdhsa_float_round_mode_32 0
		.amdhsa_float_round_mode_16_64 0
		.amdhsa_float_denorm_mode_32 3
		.amdhsa_float_denorm_mode_16_64 3
		.amdhsa_fp16_overflow 0
		.amdhsa_memory_ordered 1
		.amdhsa_forward_progress 1
		.amdhsa_inst_pref_size 12
		.amdhsa_round_robin_scheduling 0
		.amdhsa_exception_fp_ieee_invalid_op 0
		.amdhsa_exception_fp_denorm_src 0
		.amdhsa_exception_fp_ieee_div_zero 0
		.amdhsa_exception_fp_ieee_overflow 0
		.amdhsa_exception_fp_ieee_underflow 0
		.amdhsa_exception_fp_ieee_inexact 0
		.amdhsa_exception_int_div_zero 0
	.end_amdhsa_kernel
	.text
.Lfunc_end1:
	.size	_Z14IDCT8x8_kernelPfPKfjjj, .Lfunc_end1-_Z14IDCT8x8_kernelPfPKfjjj
                                        ; -- End function
	.set _Z14IDCT8x8_kernelPfPKfjjj.num_vgpr, 37
	.set _Z14IDCT8x8_kernelPfPKfjjj.num_agpr, 0
	.set _Z14IDCT8x8_kernelPfPKfjjj.numbered_sgpr, 20
	.set _Z14IDCT8x8_kernelPfPKfjjj.num_named_barrier, 0
	.set _Z14IDCT8x8_kernelPfPKfjjj.private_seg_size, 0
	.set _Z14IDCT8x8_kernelPfPKfjjj.uses_vcc, 1
	.set _Z14IDCT8x8_kernelPfPKfjjj.uses_flat_scratch, 0
	.set _Z14IDCT8x8_kernelPfPKfjjj.has_dyn_sized_stack, 0
	.set _Z14IDCT8x8_kernelPfPKfjjj.has_recursion, 0
	.set _Z14IDCT8x8_kernelPfPKfjjj.has_indirect_call, 0
	.section	.AMDGPU.csdata,"",@progbits
; Kernel info:
; codeLenInByte = 1480
; TotalNumSgprs: 22
; NumVgprs: 37
; ScratchSize: 0
; MemoryBound: 0
; FloatMode: 240
; IeeeMode: 1
; LDSByteSize: 2112 bytes/workgroup (compile time only)
; SGPRBlocks: 0
; VGPRBlocks: 2
; NumSGPRsForWavesPerEU: 22
; NumVGPRsForWavesPerEU: 37
; NamedBarCnt: 0
; Occupancy: 16
; WaveLimiterHint : 0
; COMPUTE_PGM_RSRC2:SCRATCH_EN: 0
; COMPUTE_PGM_RSRC2:USER_SGPR: 2
; COMPUTE_PGM_RSRC2:TRAP_HANDLER: 0
; COMPUTE_PGM_RSRC2:TGID_X_EN: 1
; COMPUTE_PGM_RSRC2:TGID_Y_EN: 1
; COMPUTE_PGM_RSRC2:TGID_Z_EN: 0
; COMPUTE_PGM_RSRC2:TIDIG_COMP_CNT: 1
	.text
	.p2alignl 7, 3214868480
	.fill 96, 4, 3214868480
	.section	.AMDGPU.gpr_maximums,"",@progbits
	.set amdgpu.max_num_vgpr, 0
	.set amdgpu.max_num_agpr, 0
	.set amdgpu.max_num_sgpr, 0
	.text
	.type	__hip_cuid_b94c9e380d03c0c9,@object ; @__hip_cuid_b94c9e380d03c0c9
	.section	.bss,"aw",@nobits
	.globl	__hip_cuid_b94c9e380d03c0c9
__hip_cuid_b94c9e380d03c0c9:
	.byte	0                               ; 0x0
	.size	__hip_cuid_b94c9e380d03c0c9, 1

	.ident	"AMD clang version 22.0.0git (https://github.com/RadeonOpenCompute/llvm-project roc-7.2.4 26084 f58b06dce1f9c15707c5f808fd002e18c2accf7e)"
	.section	".note.GNU-stack","",@progbits
	.addrsig
	.addrsig_sym __hip_cuid_b94c9e380d03c0c9
	.amdgpu_metadata
---
amdhsa.kernels:
  - .args:
      - .actual_access:  write_only
        .address_space:  global
        .offset:         0
        .size:           8
        .value_kind:     global_buffer
      - .actual_access:  read_only
        .address_space:  global
        .offset:         8
        .size:           8
        .value_kind:     global_buffer
      - .offset:         16
        .size:           4
        .value_kind:     by_value
      - .offset:         20
        .size:           4
        .value_kind:     by_value
      - .offset:         24
        .size:           4
        .value_kind:     by_value
    .group_segment_fixed_size: 2112
    .kernarg_segment_align: 8
    .kernarg_segment_size: 28
    .language:       OpenCL C
    .language_version:
      - 2
      - 0
    .max_flat_workgroup_size: 1024
    .name:           _Z13DCT8x8_kernelPfPKfjjj
    .private_segment_fixed_size: 0
    .sgpr_count:     22
    .sgpr_spill_count: 0
    .symbol:         _Z13DCT8x8_kernelPfPKfjjj.kd
    .uniform_work_group_size: 1
    .uses_dynamic_stack: false
    .vgpr_count:     40
    .vgpr_spill_count: 0
    .wavefront_size: 32
  - .args:
      - .actual_access:  write_only
        .address_space:  global
        .offset:         0
        .size:           8
        .value_kind:     global_buffer
      - .actual_access:  read_only
        .address_space:  global
        .offset:         8
        .size:           8
        .value_kind:     global_buffer
      - .offset:         16
        .size:           4
        .value_kind:     by_value
      - .offset:         20
        .size:           4
        .value_kind:     by_value
      - .offset:         24
        .size:           4
        .value_kind:     by_value
    .group_segment_fixed_size: 2112
    .kernarg_segment_align: 8
    .kernarg_segment_size: 28
    .language:       OpenCL C
    .language_version:
      - 2
      - 0
    .max_flat_workgroup_size: 1024
    .name:           _Z14IDCT8x8_kernelPfPKfjjj
    .private_segment_fixed_size: 0
    .sgpr_count:     22
    .sgpr_spill_count: 0
    .symbol:         _Z14IDCT8x8_kernelPfPKfjjj.kd
    .uniform_work_group_size: 1
    .uses_dynamic_stack: false
    .vgpr_count:     37
    .vgpr_spill_count: 0
    .wavefront_size: 32
amdhsa.target:   amdgcn-amd-amdhsa--gfx1250
amdhsa.version:
  - 1
  - 2
...

	.end_amdgpu_metadata
